;; amdgpu-corpus repo=zjin-lcf/HeCBench kind=compiled arch=gfx1100 opt=O3
	.text
	.amdgcn_target "amdgcn-amd-amdhsa--gfx1100"
	.amdhsa_code_object_version 6
	.protected	_Z4rtm8PKfS0_S0_PfS1_S1_S0_m ; -- Begin function _Z4rtm8PKfS0_S0_PfS1_S1_S0_m
	.globl	_Z4rtm8PKfS0_S0_PfS1_S1_S0_m
	.p2align	8
	.type	_Z4rtm8PKfS0_S0_PfS1_S1_S0_m,@function
_Z4rtm8PKfS0_S0_PfS1_S1_S0_m:           ; @_Z4rtm8PKfS0_S0_PfS1_S1_S0_m
; %bb.0:
	s_load_b64 s[2:3], s[0:1], 0x4c
	v_and_b32_e32 v1, 0x3ff, v0
	v_bfe_u32 v4, v0, 10, 10
	v_bfe_u32 v5, v0, 20, 10
	s_waitcnt lgkmcnt(0)
	s_lshr_b32 s4, s2, 16
	s_and_b32 s2, s2, 0xffff
	s_and_b32 s3, s3, 0xffff
	v_mad_u64_u32 v[6:7], null, s13, s2, v[1:2]
	v_mad_u64_u32 v[2:3], null, s14, s4, v[4:5]
	s_delay_alu instid0(VALU_DEP_2) | instskip(SKIP_1) | instid1(VALU_DEP_3)
	v_mad_u64_u32 v[0:1], null, s15, s3, v[5:6]
	v_add_nc_u32_e32 v12, -4, v6
	v_add_nc_u32_e32 v11, -4, v2
	s_delay_alu instid0(VALU_DEP_2) | instskip(NEXT) | instid1(VALU_DEP_4)
	v_cmp_gt_u32_e32 vcc_lo, 0x2a0, v12
	v_add_nc_u32_e32 v10, -4, v0
	s_delay_alu instid0(VALU_DEP_3) | instskip(NEXT) | instid1(VALU_DEP_2)
	v_cmp_gt_u32_e64 s2, 0x7e, v11
	v_cmp_gt_u32_e64 s3, 0x1ba, v10
	s_delay_alu instid0(VALU_DEP_2)
	s_and_b32 s2, vcc_lo, s2
	s_delay_alu instid0(VALU_DEP_1) | instid1(SALU_CYCLE_1)
	s_and_b32 s2, s2, s3
	s_delay_alu instid0(SALU_CYCLE_1)
	s_and_saveexec_b32 s3, s2
	s_cbranch_execz .LBB0_2
; %bb.1:
	v_mul_lo_u32 v56, 0x2a8, v2
	s_load_b256 s[4:11], s[0:1], 0x0
	v_mul_lo_u32 v60, 0x163f0, v0
	v_mov_b32_e32 v14, 0
	s_clause 0x1
	s_load_b128 s[12:15], s[0:1], 0x20
	s_load_b64 s[0:1], s[0:1], 0x30
	v_mul_lo_u32 v61, 0x2a8, v11
	v_add_nc_u32_e32 v15, v56, v6
	v_add_co_u32 v0, s2, v6, v56
	s_delay_alu instid0(VALU_DEP_1) | instskip(NEXT) | instid1(VALU_DEP_3)
	v_add_co_ci_u32_e64 v3, null, 0, 0, s2
	v_add_nc_u32_e32 v13, v15, v60
	s_delay_alu instid0(VALU_DEP_3) | instskip(NEXT) | instid1(VALU_DEP_3)
	v_add_co_u32 v2, vcc_lo, v0, v60
	v_add_co_ci_u32_e32 v3, vcc_lo, 0, v3, vcc_lo
	s_delay_alu instid0(VALU_DEP_3) | instskip(SKIP_1) | instid1(VALU_DEP_3)
	v_lshlrev_b64 v[4:5], 2, v[13:14]
	v_dual_mov_b32 v1, v14 :: v_dual_add_nc_u32 v0, -1, v13
	v_lshlrev_b64 v[16:17], 2, v[2:3]
	v_dual_mov_b32 v23, v14 :: v_dual_add_nc_u32 v22, 0xfffffd58, v13
	v_dual_mov_b32 v25, v14 :: v_dual_add_nc_u32 v24, 0x163f0, v13
	s_delay_alu instid0(VALU_DEP_4)
	v_lshlrev_b64 v[18:19], 2, v[0:1]
	s_waitcnt lgkmcnt(0)
	v_add_co_u32 v0, vcc_lo, s6, v4
	v_add_co_ci_u32_e32 v1, vcc_lo, s7, v5, vcc_lo
	v_add_co_u32 v20, vcc_lo, s6, v16
	v_add_co_ci_u32_e32 v21, vcc_lo, s7, v17, vcc_lo
	;; [unrolled: 2-line block ×3, first 2 shown]
	s_clause 0x3
	global_load_b32 v7, v[0:1], off
	global_load_b128 v[0:3], v[20:21], off offset:4
	global_load_b32 v9, v[8:9], off
	global_load_b32 v8, v[20:21], off offset:2720
	v_lshlrev_b64 v[22:23], 2, v[22:23]
	v_lshlrev_b64 v[20:21], 2, v[24:25]
	v_dual_mov_b32 v29, v14 :: v_dual_add_nc_u32 v24, 0xfffe9c10, v13
	v_dual_mov_b32 v33, v14 :: v_dual_add_nc_u32 v28, -2, v13
	s_delay_alu instid0(VALU_DEP_4) | instskip(NEXT) | instid1(VALU_DEP_3)
	v_add_co_u32 v26, vcc_lo, s6, v22
	v_lshlrev_b64 v[24:25], 2, v[24:25]
	v_dual_mov_b32 v37, v14 :: v_dual_add_nc_u32 v32, 0x550, v13
	v_add_co_ci_u32_e32 v27, vcc_lo, s7, v23, vcc_lo
	v_add_co_u32 v30, vcc_lo, s6, v20
	v_lshlrev_b64 v[28:29], 2, v[28:29]
	v_dual_mov_b32 v41, v14 :: v_dual_add_nc_u32 v36, 0xfffffab0, v13
	v_add_co_ci_u32_e32 v31, vcc_lo, s7, v21, vcc_lo
	;; [unrolled: 4-line block ×4, first 2 shown]
	v_add_co_u32 v42, vcc_lo, s6, v32
	v_lshlrev_b64 v[40:41], 2, v[40:41]
	v_add_co_ci_u32_e32 v43, vcc_lo, s7, v33, vcc_lo
	v_add_co_u32 v46, vcc_lo, s6, v36
	v_lshlrev_b64 v[44:45], 2, v[44:45]
	v_add_co_ci_u32_e32 v47, vcc_lo, s7, v37, vcc_lo
	v_add_co_u32 v48, vcc_lo, s6, v40
	v_add_co_ci_u32_e32 v49, vcc_lo, s7, v41, vcc_lo
	s_delay_alu instid0(VALU_DEP_4)
	v_add_co_u32 v52, vcc_lo, s6, v44
	v_add_co_ci_u32_e32 v53, vcc_lo, s7, v45, vcc_lo
	s_clause 0x7
	global_load_b32 v72, v[26:27], off
	global_load_b32 v73, v[30:31], off
	;; [unrolled: 1-line block ×8, first 2 shown]
	v_add3_u32 v52, v60, v56, v12
	v_mov_b32_e32 v12, v14
	v_dual_mov_b32 v55, v14 :: v_dual_add_nc_u32 v50, -3, v13
	v_dual_mov_b32 v31, v14 :: v_dual_add_nc_u32 v54, 0x7f8, v13
	v_dual_mov_b32 v43, v14 :: v_dual_add_nc_u32 v30, 0xfffff808, v13
	s_delay_alu instid0(VALU_DEP_3) | instskip(NEXT) | instid1(VALU_DEP_3)
	v_lshlrev_b64 v[50:51], 2, v[50:51]
	v_lshlrev_b64 v[26:27], 2, v[54:55]
	v_dual_mov_b32 v49, v14 :: v_dual_add_nc_u32 v42, 0x42bd0, v13
	s_delay_alu instid0(VALU_DEP_4)
	v_lshlrev_b64 v[30:31], 2, v[30:31]
	v_dual_mov_b32 v53, v14 :: v_dual_add_nc_u32 v48, 0xfffbd430, v13
	v_add_co_u32 v34, vcc_lo, s6, v50
	v_add_co_ci_u32_e32 v35, vcc_lo, s7, v51, vcc_lo
	v_add_co_u32 v38, vcc_lo, s6, v26
	v_lshlrev_b64 v[42:43], 2, v[42:43]
	v_add_co_ci_u32_e32 v39, vcc_lo, s7, v27, vcc_lo
	v_add_nc_u32_e32 v11, 0xaa0, v13
	v_add_co_u32 v46, vcc_lo, s6, v30
	v_lshlrev_b64 v[48:49], 2, v[48:49]
	v_add_co_ci_u32_e32 v47, vcc_lo, s7, v31, vcc_lo
	v_add_co_u32 v54, vcc_lo, s6, v42
	v_lshlrev_b64 v[52:53], 2, v[52:53]
	v_lshlrev_b64 v[58:59], 2, v[11:12]
	v_add3_u32 v11, v60, v6, v61
	v_add_co_ci_u32_e32 v55, vcc_lo, s7, v43, vcc_lo
	v_add_co_u32 v56, vcc_lo, s6, v48
	v_add_nc_u32_e32 v13, 0x58fc0, v13
	v_add_co_ci_u32_e32 v57, vcc_lo, s7, v49, vcc_lo
	v_add_co_u32 v60, vcc_lo, s6, v52
	v_lshlrev_b64 v[62:63], 2, v[11:12]
	v_add_co_ci_u32_e32 v61, vcc_lo, s7, v53, vcc_lo
	v_add_co_u32 v11, vcc_lo, s6, v58
	v_lshlrev_b64 v[64:65], 2, v[13:14]
	v_mad_u64_u32 v[70:71], null, 0x163f0, v10, v[15:16]
	v_add_co_ci_u32_e32 v12, vcc_lo, s7, v59, vcc_lo
	v_add_co_u32 v66, vcc_lo, s6, v62
	v_mov_b32_e32 v71, v14
	v_add_co_ci_u32_e32 v67, vcc_lo, s7, v63, vcc_lo
	v_add_co_u32 v68, vcc_lo, s6, v64
	v_add_co_ci_u32_e32 v69, vcc_lo, s7, v65, vcc_lo
	v_add_co_u32 v10, vcc_lo, s8, v4
	s_clause 0x8
	global_load_b32 v6, v[34:35], off
	global_load_b32 v38, v[38:39], off
	;; [unrolled: 1-line block ×9, first 2 shown]
	v_add_co_ci_u32_e32 v11, vcc_lo, s9, v5, vcc_lo
	v_add_co_u32 v16, vcc_lo, s8, v16
	v_add_co_ci_u32_e32 v17, vcc_lo, s9, v17, vcc_lo
	s_clause 0x1
	global_load_b32 v60, v[10:11], off
	global_load_b128 v[10:13], v[16:17], off offset:4
	s_waitcnt vmcnt(20)
	v_add_f32_e32 v0, v0, v9
	v_lshlrev_b64 v[14:15], 2, v[70:71]
	s_waitcnt vmcnt(19)
	s_delay_alu instid0(VALU_DEP_2) | instskip(NEXT) | instid1(VALU_DEP_2)
	v_add_f32_e32 v0, v0, v8
	v_add_co_u32 v34, vcc_lo, s6, v14
	s_delay_alu instid0(VALU_DEP_3)
	v_add_co_ci_u32_e32 v35, vcc_lo, s7, v15, vcc_lo
	v_add_co_u32 v18, vcc_lo, s8, v18
	v_add_co_ci_u32_e32 v19, vcc_lo, s9, v19, vcc_lo
	v_add_co_u32 v22, vcc_lo, s8, v22
	;; [unrolled: 2-line block ×5, first 2 shown]
	v_add_co_ci_u32_e32 v29, vcc_lo, s9, v29, vcc_lo
	s_clause 0x4
	global_load_b32 v61, v[18:19], off
	global_load_b32 v66, v[22:23], off
	;; [unrolled: 1-line block ×5, first 2 shown]
	v_add_co_u32 v18, vcc_lo, s8, v32
	v_add_co_ci_u32_e32 v19, vcc_lo, s9, v33, vcc_lo
	v_add_co_u32 v20, vcc_lo, s8, v36
	v_add_co_ci_u32_e32 v21, vcc_lo, s9, v37, vcc_lo
	;; [unrolled: 2-line block ×8, first 2 shown]
	s_clause 0x5
	global_load_b32 v36, v[22:23], off
	global_load_b32 v37, v[24:25], off
	;; [unrolled: 1-line block ×6, first 2 shown]
	v_add_co_u32 v22, vcc_lo, s8, v58
	v_add_co_ci_u32_e32 v23, vcc_lo, s9, v59, vcc_lo
	v_add_co_u32 v24, vcc_lo, s8, v40
	v_add_co_ci_u32_e32 v25, vcc_lo, s9, v41, vcc_lo
	s_clause 0x4
	global_load_b32 v30, v[16:17], off offset:2720
	global_load_b32 v31, v[18:19], off
	global_load_b32 v22, v[22:23], off
	;; [unrolled: 1-line block ×4, first 2 shown]
	v_add_co_u32 v16, vcc_lo, s8, v62
	v_add_co_ci_u32_e32 v17, vcc_lo, s9, v63, vcc_lo
	v_add_co_u32 v18, vcc_lo, s8, v44
	v_add_co_ci_u32_e32 v19, vcc_lo, s9, v45, vcc_lo
	global_load_b32 v25, v[16:17], off
	v_add_co_u32 v16, vcc_lo, s8, v64
	v_add_co_ci_u32_e32 v17, vcc_lo, s9, v65, vcc_lo
	v_add_co_u32 v20, vcc_lo, s10, v4
	v_add_co_ci_u32_e32 v21, vcc_lo, s11, v5, vcc_lo
	;; [unrolled: 2-line block ×3, first 2 shown]
	s_clause 0x1
	global_load_b32 v18, v[18:19], off
	global_load_b32 v19, v[16:17], off
	v_add_co_u32 v16, vcc_lo, s12, v4
	v_add_co_ci_u32_e32 v17, vcc_lo, s13, v5, vcc_lo
	global_load_b32 v32, v[34:35], off
	global_load_b32 v33, v[14:15], off
	;; [unrolled: 1-line block ×4, first 2 shown]
	v_add_co_u32 v14, vcc_lo, s4, v4
	v_add_co_ci_u32_e32 v15, vcc_lo, s5, v5, vcc_lo
	s_waitcnt vmcnt(38)
	v_dual_add_f32 v1, v1, v75 :: v_dual_add_f32 v0, v0, v72
	global_load_b32 v14, v[14:15], off
	s_clause 0x1
	s_load_b128 s[4:7], s[0:1], 0x0
	s_load_b32 s0, s[0:1], 0x10
	s_waitcnt vmcnt(34)
	v_add_f32_e32 v2, v2, v6
	s_waitcnt vmcnt(29)
	v_add_f32_e32 v3, v3, v54
	s_waitcnt vmcnt(28)
	s_delay_alu instid0(VALU_DEP_1) | instskip(SKIP_1) | instid1(VALU_DEP_1)
	v_dual_add_f32 v2, v2, v38 :: v_dual_add_f32 v3, v3, v55
	s_waitcnt vmcnt(27)
	v_dual_add_f32 v2, v2, v39 :: v_dual_add_f32 v3, v3, v56
	s_waitcnt vmcnt(26)
	s_delay_alu instid0(VALU_DEP_1)
	v_add_f32_e32 v3, v3, v57
	s_waitcnt vmcnt(23)
	v_add_f32_e32 v6, v10, v61
	s_waitcnt vmcnt(18)
	v_dual_add_f32 v9, v11, v69 :: v_dual_add_f32 v10, v12, v36
	s_waitcnt vmcnt(12)
	s_delay_alu instid0(VALU_DEP_2)
	v_dual_add_f32 v11, v13, v29 :: v_dual_add_f32 v6, v6, v30
	v_add_f32_e32 v1, v1, v76
	s_waitcnt vmcnt(11)
	v_dual_add_f32 v8, v9, v31 :: v_dual_add_f32 v9, v10, v37
	s_waitcnt vmcnt(10)
	v_add_f32_e32 v10, v11, v22
	v_dual_add_f32 v6, v6, v66 :: v_dual_add_f32 v1, v1, v77
	v_add_f32_e32 v0, v0, v73
	s_waitcnt vmcnt(9)
	v_dual_add_f32 v8, v8, v23 :: v_dual_add_f32 v9, v9, v26
	s_delay_alu instid0(VALU_DEP_3) | instskip(NEXT) | instid1(VALU_DEP_3)
	v_dual_add_f32 v6, v6, v67 :: v_dual_add_f32 v1, v1, v78
	v_add_f32_e32 v0, v0, v74
	s_waitcnt vmcnt(7)
	s_delay_alu instid0(VALU_DEP_3) | instskip(NEXT) | instid1(VALU_DEP_3)
	v_dual_add_f32 v10, v10, v25 :: v_dual_add_f32 v9, v9, v27
	v_dual_add_f32 v2, v2, v46 :: v_dual_add_f32 v1, v1, v79
	s_waitcnt lgkmcnt(0)
	v_mul_f32_e32 v0, s5, v0
	v_add_f32_e32 v6, v6, v68
	s_delay_alu instid0(VALU_DEP_3) | instskip(NEXT) | instid1(VALU_DEP_3)
	v_dual_add_f32 v9, v9, v28 :: v_dual_add_f32 v2, v2, v47
	v_fmac_f32_e32 v0, s4, v7
	s_delay_alu instid0(VALU_DEP_3)
	v_mul_f32_e32 v6, s5, v6
	s_waitcnt vmcnt(5)
	v_add_f32_e32 v10, v10, v19
	s_waitcnt vmcnt(4)
	v_dual_fmac_f32 v0, s6, v1 :: v_dual_add_f32 v1, v3, v32
	v_add_f32_e32 v8, v8, v24
	s_waitcnt vmcnt(3)
	v_dual_fmac_f32 v6, s4, v60 :: v_dual_add_f32 v3, v10, v33
	s_delay_alu instid0(VALU_DEP_3)
	v_fmac_f32_e32 v0, s7, v2
	s_waitcnt vmcnt(2)
	v_fma_f32 v2, v7, 2.0, -v34
	s_waitcnt vmcnt(1)
	v_fma_f32 v7, v60, 2.0, -v35
	v_fmac_f32_e32 v0, s0, v1
	s_waitcnt vmcnt(0)
	s_delay_alu instid0(VALU_DEP_1) | instskip(SKIP_3) | instid1(VALU_DEP_3)
	v_fmac_f32_e32 v2, v14, v0
	v_add_f32_e32 v8, v8, v18
	v_add_co_u32 v0, vcc_lo, s14, v4
	v_add_co_ci_u32_e32 v1, vcc_lo, s15, v5, vcc_lo
	v_fmac_f32_e32 v6, s6, v8
	s_delay_alu instid0(VALU_DEP_1) | instskip(NEXT) | instid1(VALU_DEP_1)
	v_fmac_f32_e32 v6, s7, v9
	v_fmac_f32_e32 v6, s0, v3
	s_delay_alu instid0(VALU_DEP_1) | instskip(NEXT) | instid1(VALU_DEP_1)
	v_fmac_f32_e32 v7, v14, v6
	v_mul_f32_e32 v3, v2, v7
	global_store_b32 v[20:21], v2, off
	global_store_b32 v[16:17], v7, off
	;; [unrolled: 1-line block ×3, first 2 shown]
.LBB0_2:
	s_nop 0
	s_sendmsg sendmsg(MSG_DEALLOC_VGPRS)
	s_endpgm
	.section	.rodata,"a",@progbits
	.p2align	6, 0x0
	.amdhsa_kernel _Z4rtm8PKfS0_S0_PfS1_S1_S0_m
		.amdhsa_group_segment_fixed_size 0
		.amdhsa_private_segment_fixed_size 0
		.amdhsa_kernarg_size 320
		.amdhsa_user_sgpr_count 13
		.amdhsa_user_sgpr_dispatch_ptr 0
		.amdhsa_user_sgpr_queue_ptr 0
		.amdhsa_user_sgpr_kernarg_segment_ptr 1
		.amdhsa_user_sgpr_dispatch_id 0
		.amdhsa_user_sgpr_private_segment_size 0
		.amdhsa_wavefront_size32 1
		.amdhsa_uses_dynamic_stack 0
		.amdhsa_enable_private_segment 0
		.amdhsa_system_sgpr_workgroup_id_x 1
		.amdhsa_system_sgpr_workgroup_id_y 1
		.amdhsa_system_sgpr_workgroup_id_z 1
		.amdhsa_system_sgpr_workgroup_info 0
		.amdhsa_system_vgpr_workitem_id 2
		.amdhsa_next_free_vgpr 80
		.amdhsa_next_free_sgpr 16
		.amdhsa_reserve_vcc 1
		.amdhsa_float_round_mode_32 0
		.amdhsa_float_round_mode_16_64 0
		.amdhsa_float_denorm_mode_32 3
		.amdhsa_float_denorm_mode_16_64 3
		.amdhsa_dx10_clamp 1
		.amdhsa_ieee_mode 1
		.amdhsa_fp16_overflow 0
		.amdhsa_workgroup_processor_mode 1
		.amdhsa_memory_ordered 1
		.amdhsa_forward_progress 0
		.amdhsa_shared_vgpr_count 0
		.amdhsa_exception_fp_ieee_invalid_op 0
		.amdhsa_exception_fp_denorm_src 0
		.amdhsa_exception_fp_ieee_div_zero 0
		.amdhsa_exception_fp_ieee_overflow 0
		.amdhsa_exception_fp_ieee_underflow 0
		.amdhsa_exception_fp_ieee_inexact 0
		.amdhsa_exception_int_div_zero 0
	.end_amdhsa_kernel
	.text
.Lfunc_end0:
	.size	_Z4rtm8PKfS0_S0_PfS1_S1_S0_m, .Lfunc_end0-_Z4rtm8PKfS0_S0_PfS1_S1_S0_m
                                        ; -- End function
	.section	.AMDGPU.csdata,"",@progbits
; Kernel info:
; codeLenInByte = 2064
; NumSgprs: 18
; NumVgprs: 80
; ScratchSize: 0
; MemoryBound: 0
; FloatMode: 240
; IeeeMode: 1
; LDSByteSize: 0 bytes/workgroup (compile time only)
; SGPRBlocks: 2
; VGPRBlocks: 9
; NumSGPRsForWavesPerEU: 18
; NumVGPRsForWavesPerEU: 80
; Occupancy: 16
; WaveLimiterHint : 0
; COMPUTE_PGM_RSRC2:SCRATCH_EN: 0
; COMPUTE_PGM_RSRC2:USER_SGPR: 13
; COMPUTE_PGM_RSRC2:TRAP_HANDLER: 0
; COMPUTE_PGM_RSRC2:TGID_X_EN: 1
; COMPUTE_PGM_RSRC2:TGID_Y_EN: 1
; COMPUTE_PGM_RSRC2:TGID_Z_EN: 1
; COMPUTE_PGM_RSRC2:TIDIG_COMP_CNT: 2
	.text
	.p2alignl 7, 3214868480
	.fill 96, 4, 3214868480
	.type	__hip_cuid_b07a8aa993035fa4,@object ; @__hip_cuid_b07a8aa993035fa4
	.section	.bss,"aw",@nobits
	.globl	__hip_cuid_b07a8aa993035fa4
__hip_cuid_b07a8aa993035fa4:
	.byte	0                               ; 0x0
	.size	__hip_cuid_b07a8aa993035fa4, 1

	.ident	"AMD clang version 19.0.0git (https://github.com/RadeonOpenCompute/llvm-project roc-6.4.0 25133 c7fe45cf4b819c5991fe208aaa96edf142730f1d)"
	.section	".note.GNU-stack","",@progbits
	.addrsig
	.addrsig_sym __hip_cuid_b07a8aa993035fa4
	.amdgpu_metadata
---
amdhsa.kernels:
  - .args:
      - .actual_access:  read_only
        .address_space:  global
        .offset:         0
        .size:           8
        .value_kind:     global_buffer
      - .actual_access:  read_only
        .address_space:  global
        .offset:         8
        .size:           8
        .value_kind:     global_buffer
      - .actual_access:  read_only
        .address_space:  global
        .offset:         16
        .size:           8
        .value_kind:     global_buffer
      - .address_space:  global
        .offset:         24
        .size:           8
        .value_kind:     global_buffer
      - .address_space:  global
        .offset:         32
        .size:           8
        .value_kind:     global_buffer
      - .actual_access:  write_only
        .address_space:  global
        .offset:         40
        .size:           8
        .value_kind:     global_buffer
      - .actual_access:  read_only
        .address_space:  global
        .offset:         48
        .size:           8
        .value_kind:     global_buffer
      - .offset:         56
        .size:           8
        .value_kind:     by_value
      - .offset:         64
        .size:           4
        .value_kind:     hidden_block_count_x
      - .offset:         68
        .size:           4
        .value_kind:     hidden_block_count_y
      - .offset:         72
        .size:           4
        .value_kind:     hidden_block_count_z
      - .offset:         76
        .size:           2
        .value_kind:     hidden_group_size_x
      - .offset:         78
        .size:           2
        .value_kind:     hidden_group_size_y
      - .offset:         80
        .size:           2
        .value_kind:     hidden_group_size_z
      - .offset:         82
        .size:           2
        .value_kind:     hidden_remainder_x
      - .offset:         84
        .size:           2
        .value_kind:     hidden_remainder_y
      - .offset:         86
        .size:           2
        .value_kind:     hidden_remainder_z
      - .offset:         104
        .size:           8
        .value_kind:     hidden_global_offset_x
      - .offset:         112
        .size:           8
        .value_kind:     hidden_global_offset_y
      - .offset:         120
        .size:           8
        .value_kind:     hidden_global_offset_z
      - .offset:         128
        .size:           2
        .value_kind:     hidden_grid_dims
    .group_segment_fixed_size: 0
    .kernarg_segment_align: 8
    .kernarg_segment_size: 320
    .language:       OpenCL C
    .language_version:
      - 2
      - 0
    .max_flat_workgroup_size: 1024
    .name:           _Z4rtm8PKfS0_S0_PfS1_S1_S0_m
    .private_segment_fixed_size: 0
    .sgpr_count:     18
    .sgpr_spill_count: 0
    .symbol:         _Z4rtm8PKfS0_S0_PfS1_S1_S0_m.kd
    .uniform_work_group_size: 1
    .uses_dynamic_stack: false
    .vgpr_count:     80
    .vgpr_spill_count: 0
    .wavefront_size: 32
    .workgroup_processor_mode: 1
amdhsa.target:   amdgcn-amd-amdhsa--gfx1100
amdhsa.version:
  - 1
  - 2
...

	.end_amdgpu_metadata
